;; amdgpu-corpus repo=ROCm/rocFFT kind=compiled arch=gfx1201 opt=O3
	.text
	.amdgcn_target "amdgcn-amd-amdhsa--gfx1201"
	.amdhsa_code_object_version 6
	.protected	fft_rtc_fwd_len624_factors_13_4_6_2_wgs_52_tpt_52_dp_ip_CI_unitstride_sbrr_dirReg ; -- Begin function fft_rtc_fwd_len624_factors_13_4_6_2_wgs_52_tpt_52_dp_ip_CI_unitstride_sbrr_dirReg
	.globl	fft_rtc_fwd_len624_factors_13_4_6_2_wgs_52_tpt_52_dp_ip_CI_unitstride_sbrr_dirReg
	.p2align	8
	.type	fft_rtc_fwd_len624_factors_13_4_6_2_wgs_52_tpt_52_dp_ip_CI_unitstride_sbrr_dirReg,@function
fft_rtc_fwd_len624_factors_13_4_6_2_wgs_52_tpt_52_dp_ip_CI_unitstride_sbrr_dirReg: ; @fft_rtc_fwd_len624_factors_13_4_6_2_wgs_52_tpt_52_dp_ip_CI_unitstride_sbrr_dirReg
; %bb.0:
	s_clause 0x2
	s_load_b128 s[4:7], s[0:1], 0x0
	s_load_b64 s[8:9], s[0:1], 0x50
	s_load_b64 s[10:11], s[0:1], 0x18
	v_mul_u32_u24_e32 v1, 0x4ed, v0
	v_mov_b32_e32 v3, 0
	s_delay_alu instid0(VALU_DEP_2) | instskip(NEXT) | instid1(VALU_DEP_1)
	v_lshrrev_b32_e32 v1, 16, v1
	v_add_nc_u32_e32 v5, ttmp9, v1
	v_mov_b32_e32 v1, 0
	v_mov_b32_e32 v2, 0
	;; [unrolled: 1-line block ×3, first 2 shown]
	s_wait_kmcnt 0x0
	v_cmp_lt_u64_e64 s2, s[6:7], 2
	s_delay_alu instid0(VALU_DEP_1)
	s_and_b32 vcc_lo, exec_lo, s2
	s_cbranch_vccnz .LBB0_8
; %bb.1:
	s_load_b64 s[2:3], s[0:1], 0x10
	v_mov_b32_e32 v1, 0
	v_mov_b32_e32 v2, 0
	s_add_nc_u64 s[12:13], s[10:11], 8
	s_mov_b64 s[14:15], 1
	s_wait_kmcnt 0x0
	s_add_nc_u64 s[16:17], s[2:3], 8
	s_mov_b32 s3, 0
.LBB0_2:                                ; =>This Inner Loop Header: Depth=1
	s_load_b64 s[18:19], s[16:17], 0x0
                                        ; implicit-def: $vgpr7_vgpr8
	s_mov_b32 s2, exec_lo
	s_wait_kmcnt 0x0
	v_or_b32_e32 v4, s19, v6
	s_delay_alu instid0(VALU_DEP_1)
	v_cmpx_ne_u64_e32 0, v[3:4]
	s_wait_alu 0xfffe
	s_xor_b32 s20, exec_lo, s2
	s_cbranch_execz .LBB0_4
; %bb.3:                                ;   in Loop: Header=BB0_2 Depth=1
	s_cvt_f32_u32 s2, s18
	s_cvt_f32_u32 s21, s19
	s_sub_nc_u64 s[24:25], 0, s[18:19]
	s_wait_alu 0xfffe
	s_delay_alu instid0(SALU_CYCLE_1) | instskip(SKIP_1) | instid1(SALU_CYCLE_2)
	s_fmamk_f32 s2, s21, 0x4f800000, s2
	s_wait_alu 0xfffe
	v_s_rcp_f32 s2, s2
	s_delay_alu instid0(TRANS32_DEP_1) | instskip(SKIP_1) | instid1(SALU_CYCLE_2)
	s_mul_f32 s2, s2, 0x5f7ffffc
	s_wait_alu 0xfffe
	s_mul_f32 s21, s2, 0x2f800000
	s_wait_alu 0xfffe
	s_delay_alu instid0(SALU_CYCLE_2) | instskip(SKIP_1) | instid1(SALU_CYCLE_2)
	s_trunc_f32 s21, s21
	s_wait_alu 0xfffe
	s_fmamk_f32 s2, s21, 0xcf800000, s2
	s_cvt_u32_f32 s23, s21
	s_wait_alu 0xfffe
	s_delay_alu instid0(SALU_CYCLE_1) | instskip(SKIP_1) | instid1(SALU_CYCLE_2)
	s_cvt_u32_f32 s22, s2
	s_wait_alu 0xfffe
	s_mul_u64 s[26:27], s[24:25], s[22:23]
	s_wait_alu 0xfffe
	s_mul_hi_u32 s29, s22, s27
	s_mul_i32 s28, s22, s27
	s_mul_hi_u32 s2, s22, s26
	s_mul_i32 s30, s23, s26
	s_wait_alu 0xfffe
	s_add_nc_u64 s[28:29], s[2:3], s[28:29]
	s_mul_hi_u32 s21, s23, s26
	s_mul_hi_u32 s31, s23, s27
	s_add_co_u32 s2, s28, s30
	s_wait_alu 0xfffe
	s_add_co_ci_u32 s2, s29, s21
	s_mul_i32 s26, s23, s27
	s_add_co_ci_u32 s27, s31, 0
	s_wait_alu 0xfffe
	s_add_nc_u64 s[26:27], s[2:3], s[26:27]
	s_wait_alu 0xfffe
	v_add_co_u32 v4, s2, s22, s26
	s_delay_alu instid0(VALU_DEP_1) | instskip(SKIP_1) | instid1(VALU_DEP_1)
	s_cmp_lg_u32 s2, 0
	s_add_co_ci_u32 s23, s23, s27
	v_readfirstlane_b32 s22, v4
	s_wait_alu 0xfffe
	s_delay_alu instid0(VALU_DEP_1)
	s_mul_u64 s[24:25], s[24:25], s[22:23]
	s_wait_alu 0xfffe
	s_mul_hi_u32 s27, s22, s25
	s_mul_i32 s26, s22, s25
	s_mul_hi_u32 s2, s22, s24
	s_mul_i32 s28, s23, s24
	s_wait_alu 0xfffe
	s_add_nc_u64 s[26:27], s[2:3], s[26:27]
	s_mul_hi_u32 s21, s23, s24
	s_mul_hi_u32 s22, s23, s25
	s_wait_alu 0xfffe
	s_add_co_u32 s2, s26, s28
	s_add_co_ci_u32 s2, s27, s21
	s_mul_i32 s24, s23, s25
	s_add_co_ci_u32 s25, s22, 0
	s_wait_alu 0xfffe
	s_add_nc_u64 s[24:25], s[2:3], s[24:25]
	s_wait_alu 0xfffe
	v_add_co_u32 v4, s2, v4, s24
	s_delay_alu instid0(VALU_DEP_1) | instskip(SKIP_1) | instid1(VALU_DEP_1)
	s_cmp_lg_u32 s2, 0
	s_add_co_ci_u32 s2, s23, s25
	v_mul_hi_u32 v13, v5, v4
	s_wait_alu 0xfffe
	v_mad_co_u64_u32 v[7:8], null, v5, s2, 0
	v_mad_co_u64_u32 v[9:10], null, v6, v4, 0
	;; [unrolled: 1-line block ×3, first 2 shown]
	s_delay_alu instid0(VALU_DEP_3) | instskip(SKIP_1) | instid1(VALU_DEP_4)
	v_add_co_u32 v4, vcc_lo, v13, v7
	s_wait_alu 0xfffd
	v_add_co_ci_u32_e32 v7, vcc_lo, 0, v8, vcc_lo
	s_delay_alu instid0(VALU_DEP_2) | instskip(SKIP_1) | instid1(VALU_DEP_2)
	v_add_co_u32 v4, vcc_lo, v4, v9
	s_wait_alu 0xfffd
	v_add_co_ci_u32_e32 v4, vcc_lo, v7, v10, vcc_lo
	s_wait_alu 0xfffd
	v_add_co_ci_u32_e32 v7, vcc_lo, 0, v12, vcc_lo
	s_delay_alu instid0(VALU_DEP_2) | instskip(SKIP_1) | instid1(VALU_DEP_2)
	v_add_co_u32 v4, vcc_lo, v4, v11
	s_wait_alu 0xfffd
	v_add_co_ci_u32_e32 v9, vcc_lo, 0, v7, vcc_lo
	s_delay_alu instid0(VALU_DEP_2) | instskip(SKIP_1) | instid1(VALU_DEP_3)
	v_mul_lo_u32 v10, s19, v4
	v_mad_co_u64_u32 v[7:8], null, s18, v4, 0
	v_mul_lo_u32 v11, s18, v9
	s_delay_alu instid0(VALU_DEP_2) | instskip(NEXT) | instid1(VALU_DEP_2)
	v_sub_co_u32 v7, vcc_lo, v5, v7
	v_add3_u32 v8, v8, v11, v10
	s_delay_alu instid0(VALU_DEP_1) | instskip(SKIP_1) | instid1(VALU_DEP_1)
	v_sub_nc_u32_e32 v10, v6, v8
	s_wait_alu 0xfffd
	v_subrev_co_ci_u32_e64 v10, s2, s19, v10, vcc_lo
	v_add_co_u32 v11, s2, v4, 2
	s_wait_alu 0xf1ff
	v_add_co_ci_u32_e64 v12, s2, 0, v9, s2
	v_sub_co_u32 v13, s2, v7, s18
	v_sub_co_ci_u32_e32 v8, vcc_lo, v6, v8, vcc_lo
	s_wait_alu 0xf1ff
	v_subrev_co_ci_u32_e64 v10, s2, 0, v10, s2
	s_delay_alu instid0(VALU_DEP_3) | instskip(NEXT) | instid1(VALU_DEP_3)
	v_cmp_le_u32_e32 vcc_lo, s18, v13
	v_cmp_eq_u32_e64 s2, s19, v8
	s_wait_alu 0xfffd
	v_cndmask_b32_e64 v13, 0, -1, vcc_lo
	v_cmp_le_u32_e32 vcc_lo, s19, v10
	s_wait_alu 0xfffd
	v_cndmask_b32_e64 v14, 0, -1, vcc_lo
	v_cmp_le_u32_e32 vcc_lo, s18, v7
	;; [unrolled: 3-line block ×3, first 2 shown]
	s_wait_alu 0xfffd
	v_cndmask_b32_e64 v15, 0, -1, vcc_lo
	v_cmp_eq_u32_e32 vcc_lo, s19, v10
	s_wait_alu 0xf1ff
	s_delay_alu instid0(VALU_DEP_2)
	v_cndmask_b32_e64 v7, v15, v7, s2
	s_wait_alu 0xfffd
	v_cndmask_b32_e32 v10, v14, v13, vcc_lo
	v_add_co_u32 v13, vcc_lo, v4, 1
	s_wait_alu 0xfffd
	v_add_co_ci_u32_e32 v14, vcc_lo, 0, v9, vcc_lo
	s_delay_alu instid0(VALU_DEP_3) | instskip(SKIP_2) | instid1(VALU_DEP_3)
	v_cmp_ne_u32_e32 vcc_lo, 0, v10
	s_wait_alu 0xfffd
	v_cndmask_b32_e32 v10, v13, v11, vcc_lo
	v_cndmask_b32_e32 v8, v14, v12, vcc_lo
	v_cmp_ne_u32_e32 vcc_lo, 0, v7
	s_wait_alu 0xfffd
	s_delay_alu instid0(VALU_DEP_2)
	v_dual_cndmask_b32 v7, v4, v10 :: v_dual_cndmask_b32 v8, v9, v8
.LBB0_4:                                ;   in Loop: Header=BB0_2 Depth=1
	s_wait_alu 0xfffe
	s_and_not1_saveexec_b32 s2, s20
	s_cbranch_execz .LBB0_6
; %bb.5:                                ;   in Loop: Header=BB0_2 Depth=1
	v_cvt_f32_u32_e32 v4, s18
	s_sub_co_i32 s20, 0, s18
	s_delay_alu instid0(VALU_DEP_1) | instskip(NEXT) | instid1(TRANS32_DEP_1)
	v_rcp_iflag_f32_e32 v4, v4
	v_mul_f32_e32 v4, 0x4f7ffffe, v4
	s_delay_alu instid0(VALU_DEP_1) | instskip(SKIP_1) | instid1(VALU_DEP_1)
	v_cvt_u32_f32_e32 v4, v4
	s_wait_alu 0xfffe
	v_mul_lo_u32 v7, s20, v4
	s_delay_alu instid0(VALU_DEP_1) | instskip(NEXT) | instid1(VALU_DEP_1)
	v_mul_hi_u32 v7, v4, v7
	v_add_nc_u32_e32 v4, v4, v7
	s_delay_alu instid0(VALU_DEP_1) | instskip(NEXT) | instid1(VALU_DEP_1)
	v_mul_hi_u32 v4, v5, v4
	v_mul_lo_u32 v7, v4, s18
	v_add_nc_u32_e32 v8, 1, v4
	s_delay_alu instid0(VALU_DEP_2) | instskip(NEXT) | instid1(VALU_DEP_1)
	v_sub_nc_u32_e32 v7, v5, v7
	v_subrev_nc_u32_e32 v9, s18, v7
	v_cmp_le_u32_e32 vcc_lo, s18, v7
	s_wait_alu 0xfffd
	s_delay_alu instid0(VALU_DEP_2) | instskip(NEXT) | instid1(VALU_DEP_1)
	v_dual_cndmask_b32 v7, v7, v9 :: v_dual_cndmask_b32 v4, v4, v8
	v_cmp_le_u32_e32 vcc_lo, s18, v7
	s_delay_alu instid0(VALU_DEP_2) | instskip(SKIP_1) | instid1(VALU_DEP_1)
	v_add_nc_u32_e32 v8, 1, v4
	s_wait_alu 0xfffd
	v_dual_cndmask_b32 v7, v4, v8 :: v_dual_mov_b32 v8, v3
.LBB0_6:                                ;   in Loop: Header=BB0_2 Depth=1
	s_wait_alu 0xfffe
	s_or_b32 exec_lo, exec_lo, s2
	s_load_b64 s[20:21], s[12:13], 0x0
	s_delay_alu instid0(VALU_DEP_1)
	v_mul_lo_u32 v4, v8, s18
	v_mul_lo_u32 v11, v7, s19
	v_mad_co_u64_u32 v[9:10], null, v7, s18, 0
	s_add_nc_u64 s[14:15], s[14:15], 1
	s_add_nc_u64 s[12:13], s[12:13], 8
	s_wait_alu 0xfffe
	v_cmp_ge_u64_e64 s2, s[14:15], s[6:7]
	s_add_nc_u64 s[16:17], s[16:17], 8
	s_delay_alu instid0(VALU_DEP_2) | instskip(NEXT) | instid1(VALU_DEP_3)
	v_add3_u32 v4, v10, v11, v4
	v_sub_co_u32 v5, vcc_lo, v5, v9
	s_wait_alu 0xfffd
	s_delay_alu instid0(VALU_DEP_2) | instskip(SKIP_3) | instid1(VALU_DEP_2)
	v_sub_co_ci_u32_e32 v4, vcc_lo, v6, v4, vcc_lo
	s_and_b32 vcc_lo, exec_lo, s2
	s_wait_kmcnt 0x0
	v_mul_lo_u32 v6, s21, v5
	v_mul_lo_u32 v4, s20, v4
	v_mad_co_u64_u32 v[1:2], null, s20, v5, v[1:2]
	s_delay_alu instid0(VALU_DEP_1)
	v_add3_u32 v2, v6, v2, v4
	s_wait_alu 0xfffe
	s_cbranch_vccnz .LBB0_9
; %bb.7:                                ;   in Loop: Header=BB0_2 Depth=1
	v_dual_mov_b32 v5, v7 :: v_dual_mov_b32 v6, v8
	s_branch .LBB0_2
.LBB0_8:
	v_dual_mov_b32 v8, v6 :: v_dual_mov_b32 v7, v5
.LBB0_9:
	s_lshl_b64 s[2:3], s[6:7], 3
	v_mul_hi_u32 v3, 0x4ec4ec5, v0
	s_wait_alu 0xfffe
	s_add_nc_u64 s[2:3], s[10:11], s[2:3]
                                        ; implicit-def: $vgpr50_vgpr51
                                        ; implicit-def: $vgpr46_vgpr47
                                        ; implicit-def: $vgpr34_vgpr35
                                        ; implicit-def: $vgpr30_vgpr31
                                        ; implicit-def: $vgpr14_vgpr15
                                        ; implicit-def: $vgpr10_vgpr11
                                        ; implicit-def: $vgpr18_vgpr19
                                        ; implicit-def: $vgpr22_vgpr23
                                        ; implicit-def: $vgpr38_vgpr39
                                        ; implicit-def: $vgpr42_vgpr43
                                        ; implicit-def: $vgpr26_vgpr27
	s_load_b64 s[2:3], s[2:3], 0x0
	s_load_b64 s[0:1], s[0:1], 0x20
	s_delay_alu instid0(VALU_DEP_1) | instskip(NEXT) | instid1(VALU_DEP_1)
	v_mul_u32_u24_e32 v3, 52, v3
	v_sub_nc_u32_e32 v52, v0, v3
	s_wait_kmcnt 0x0
	v_mul_lo_u32 v4, s2, v8
	v_mul_lo_u32 v5, s3, v7
	v_mad_co_u64_u32 v[1:2], null, s2, v7, v[1:2]
	v_cmp_gt_u64_e32 vcc_lo, s[0:1], v[7:8]
	v_cmp_gt_u32_e64 s0, 48, v52
                                        ; implicit-def: $vgpr6_vgpr7
	s_delay_alu instid0(VALU_DEP_1) | instskip(NEXT) | instid1(VALU_DEP_3)
	s_and_b32 s1, vcc_lo, s0
	v_add3_u32 v2, v5, v2, v4
	s_delay_alu instid0(VALU_DEP_1)
	v_lshlrev_b64_e32 v[54:55], 4, v[1:2]
                                        ; implicit-def: $vgpr2_vgpr3
	s_wait_alu 0xfffe
	s_and_saveexec_b32 s2, s1
; %bb.10:
	v_mov_b32_e32 v53, 0
	s_delay_alu instid0(VALU_DEP_2) | instskip(SKIP_2) | instid1(VALU_DEP_3)
	v_add_co_u32 v2, s1, s8, v54
	s_wait_alu 0xf1ff
	v_add_co_ci_u32_e64 v3, s1, s9, v55, s1
	v_lshlrev_b64_e32 v[0:1], 4, v[52:53]
	s_delay_alu instid0(VALU_DEP_1) | instskip(SKIP_1) | instid1(VALU_DEP_2)
	v_add_co_u32 v0, s1, v2, v0
	s_wait_alu 0xf1ff
	v_add_co_ci_u32_e64 v1, s1, v3, v1, s1
	s_clause 0xc
	global_load_b128 v[24:27], v[0:1], off
	global_load_b128 v[48:51], v[0:1], off offset:768
	global_load_b128 v[44:47], v[0:1], off offset:1536
	global_load_b128 v[40:43], v[0:1], off offset:2304
	global_load_b128 v[36:39], v[0:1], off offset:3072
	global_load_b128 v[32:35], v[0:1], off offset:3840
	global_load_b128 v[28:31], v[0:1], off offset:4608
	global_load_b128 v[20:23], v[0:1], off offset:5376
	global_load_b128 v[16:19], v[0:1], off offset:6144
	global_load_b128 v[12:15], v[0:1], off offset:6912
	global_load_b128 v[8:11], v[0:1], off offset:7680
	global_load_b128 v[4:7], v[0:1], off offset:8448
	global_load_b128 v[0:3], v[0:1], off offset:9216
; %bb.11:
	s_wait_alu 0xfffe
	s_or_b32 exec_lo, exec_lo, s2
	s_and_saveexec_b32 s33, s0
	s_cbranch_execz .LBB0_13
; %bb.12:
	s_wait_loadcnt 0xb
	v_add_f64_e32 v[62:63], v[50:51], v[26:27]
	v_add_f64_e32 v[66:67], v[48:49], v[24:25]
	s_wait_loadcnt 0x0
	v_add_f64_e64 v[78:79], v[48:49], -v[0:1]
	v_add_f64_e64 v[86:87], v[50:51], -v[2:3]
	s_mov_b32 s2, 0x24c2f84
	s_mov_b32 s0, 0x4bc48dbf
	v_add_f64_e64 v[74:75], v[44:45], -v[4:5]
	v_add_f64_e64 v[76:77], v[46:47], -v[6:7]
	;; [unrolled: 1-line block ×10, first 2 shown]
	s_mov_b32 s3, 0xbfe5384d
	s_mov_b32 s1, 0xbfcea1e5
	v_add_f64_e32 v[92:93], v[50:51], v[2:3]
	v_add_f64_e32 v[94:95], v[48:49], v[0:1]
	;; [unrolled: 1-line block ×4, first 2 shown]
	s_mov_b32 s31, 0x3fddbe06
	s_mov_b32 s30, 0x4267c47c
	;; [unrolled: 1-line block ×14, first 2 shown]
	v_add_f64_e32 v[96:97], v[10:11], v[42:43]
	v_add_f64_e32 v[98:99], v[8:9], v[40:41]
	;; [unrolled: 1-line block ×4, first 2 shown]
	s_wait_alu 0xfffe
	v_mul_f64_e32 v[108:109], s[0:1], v[78:79]
	v_mul_f64_e32 v[112:113], s[2:3], v[78:79]
	v_mul_f64_e32 v[124:125], s[0:1], v[86:87]
	v_mul_f64_e32 v[128:129], s[2:3], v[86:87]
	s_mov_b32 s37, 0x3fe5384d
	s_mov_b32 s39, 0x3fedeba7
	;; [unrolled: 1-line block ×6, first 2 shown]
	v_mul_f64_e32 v[100:101], s[30:31], v[74:75]
	v_mul_f64_e32 v[102:103], s[30:31], v[76:77]
	;; [unrolled: 1-line block ×8, first 2 shown]
	v_add_f64_e32 v[66:67], v[34:35], v[18:19]
	v_add_f64_e32 v[62:63], v[32:33], v[16:17]
	;; [unrolled: 1-line block ×4, first 2 shown]
	v_mul_f64_e32 v[116:117], s[22:23], v[78:79]
	v_mul_f64_e32 v[120:121], s[28:29], v[78:79]
	s_wait_alu 0xfffe
	v_mul_f64_e32 v[126:127], s[26:27], v[78:79]
	v_mul_f64_e32 v[130:131], s[22:23], v[86:87]
	;; [unrolled: 1-line block ×12, first 2 shown]
	v_add_f64_e32 v[88:89], v[42:43], v[88:89]
	v_add_f64_e32 v[90:91], v[40:41], v[90:91]
	v_mul_f64_e32 v[42:43], s[30:31], v[58:59]
	v_mul_f64_e32 v[40:41], s[30:31], v[56:57]
	s_mov_b32 s31, 0xbfddbe06
	v_fma_f64 v[174:175], v[92:93], s[10:11], -v[108:109]
	s_wait_alu 0xfffe
	v_mul_f64_e32 v[78:79], s[30:31], v[78:79]
	v_mul_f64_e32 v[86:87], s[30:31], v[86:87]
	v_fma_f64 v[108:109], v[92:93], s[10:11], v[108:109]
	v_fma_f64 v[176:177], v[92:93], s[12:13], -v[112:113]
	v_fma_f64 v[112:113], v[92:93], s[12:13], v[112:113]
	v_fma_f64 v[182:183], v[94:95], s[10:11], v[124:125]
	v_fma_f64 v[124:125], v[94:95], s[10:11], -v[124:125]
	v_fma_f64 v[186:187], v[94:95], s[12:13], v[128:129]
	s_mov_b32 s20, 0xebaa3ed8
	s_mov_b32 s18, 0xb2365da1
	;; [unrolled: 1-line block ×8, first 2 shown]
	v_add_f64_e32 v[50:51], v[30:31], v[22:23]
	v_add_f64_e32 v[48:49], v[28:29], v[20:21]
	v_mul_f64_e32 v[158:159], s[36:37], v[76:77]
	v_mul_f64_e32 v[160:161], s[0:1], v[76:77]
	v_mul_f64_e32 v[162:163], s[22:23], v[76:77]
	v_mul_f64_e32 v[76:77], s[26:27], v[76:77]
	v_mul_f64_e32 v[164:165], s[2:3], v[82:83]
	v_mul_f64_e32 v[166:167], s[26:27], v[82:83]
	s_wait_alu 0xfffe
	v_fma_f64 v[178:179], v[92:93], s[18:19], -v[116:117]
	v_fma_f64 v[116:117], v[92:93], s[18:19], v[116:117]
	v_fma_f64 v[180:181], v[92:93], s[20:21], -v[120:121]
	v_fma_f64 v[120:121], v[92:93], s[20:21], v[120:121]
	;; [unrolled: 2-line block ×4, first 2 shown]
	v_add_f64_e32 v[38:39], v[38:39], v[88:89]
	v_add_f64_e32 v[36:37], v[36:37], v[90:91]
	v_mul_f64_e32 v[88:89], s[0:1], v[74:75]
	v_mul_f64_e32 v[90:91], s[22:23], v[74:75]
	;; [unrolled: 1-line block ×3, first 2 shown]
	v_fma_f64 v[130:131], v[94:95], s[18:19], -v[130:131]
	v_fma_f64 v[190:191], v[94:95], s[20:21], v[132:133]
	v_fma_f64 v[132:133], v[94:95], s[20:21], -v[132:133]
	v_fma_f64 v[192:193], v[94:95], s[16:17], v[134:135]
	v_fma_f64 v[134:135], v[94:95], s[16:17], -v[134:135]
	v_fma_f64 v[194:195], v[96:97], s[14:15], -v[110:111]
	v_fma_f64 v[110:111], v[96:97], s[14:15], v[110:111]
	v_fma_f64 v[196:197], v[96:97], s[18:19], -v[148:149]
	v_fma_f64 v[148:149], v[96:97], s[18:19], v[148:149]
	;; [unrolled: 2-line block ×7, first 2 shown]
	v_fma_f64 v[78:79], v[92:93], s[14:15], v[78:79]
	v_fma_f64 v[86:87], v[94:95], s[14:15], -v[86:87]
	v_add_f64_e32 v[174:175], v[174:175], v[26:27]
	v_add_f64_e32 v[182:183], v[182:183], v[24:25]
	v_fma_f64 v[212:213], v[44:45], s[20:21], v[156:157]
	v_add_f64_e32 v[108:109], v[108:109], v[26:27]
	v_add_f64_e32 v[124:125], v[124:125], v[24:25]
	v_add_f64_e32 v[186:187], v[186:187], v[24:25]
	v_add_f64_e32 v[112:113], v[112:113], v[26:27]
	s_mov_b32 s35, 0x3fcea1e5
	s_mov_b32 s34, s0
	v_mul_f64_e32 v[136:137], s[6:7], v[84:85]
	v_mul_f64_e32 v[138:139], s[34:35], v[84:85]
	;; [unrolled: 1-line block ×3, first 2 shown]
	v_add_f64_e32 v[34:35], v[34:35], v[38:39]
	v_add_f64_e32 v[32:33], v[32:33], v[36:37]
	v_fma_f64 v[36:37], v[96:97], s[12:13], -v[144:145]
	v_fma_f64 v[38:39], v[96:97], s[12:13], v[144:145]
	v_fma_f64 v[144:145], v[96:97], s[16:17], -v[146:147]
	v_fma_f64 v[146:147], v[96:97], s[16:17], v[146:147]
	v_fma_f64 v[96:97], v[46:47], s[14:15], -v[100:101]
	v_fma_f64 v[100:101], v[46:47], s[14:15], v[100:101]
	v_fma_f64 v[206:207], v[46:47], s[10:11], -v[88:89]
	v_fma_f64 v[88:89], v[46:47], s[10:11], v[88:89]
	v_fma_f64 v[92:93], v[46:47], s[18:19], -v[90:91]
	v_fma_f64 v[90:91], v[46:47], s[18:19], v[90:91]
	v_fma_f64 v[94:95], v[46:47], s[16:17], -v[74:75]
	v_fma_f64 v[46:47], v[46:47], s[16:17], v[74:75]
	v_fma_f64 v[74:75], v[44:45], s[14:15], v[102:103]
	v_fma_f64 v[102:103], v[44:45], s[14:15], -v[102:103]
	v_mul_f64_e32 v[170:171], s[0:1], v[82:83]
	v_mul_f64_e32 v[82:83], s[28:29], v[82:83]
	;; [unrolled: 1-line block ×3, first 2 shown]
	v_fma_f64 v[156:157], v[44:45], s[20:21], -v[156:157]
	v_add_f64_e32 v[128:129], v[128:129], v[24:25]
	v_add_f64_e32 v[178:179], v[178:179], v[26:27]
	;; [unrolled: 1-line block ×16, first 2 shown]
	v_fma_f64 v[86:87], v[44:45], s[18:19], -v[162:163]
	v_add_f64_e32 v[186:187], v[212:213], v[186:187]
	v_add_f64_e32 v[30:31], v[30:31], v[34:35]
	;; [unrolled: 1-line block ×4, first 2 shown]
	v_fma_f64 v[32:33], v[44:45], s[12:13], v[158:159]
	v_fma_f64 v[158:159], v[44:45], s[12:13], -v[158:159]
	v_fma_f64 v[176:177], v[44:45], s[10:11], v[160:161]
	v_fma_f64 v[160:161], v[44:45], s[10:11], -v[160:161]
	v_add_f64_e32 v[26:27], v[78:79], v[26:27]
	v_fma_f64 v[78:79], v[44:45], s[18:19], v[162:163]
	v_fma_f64 v[162:163], v[44:45], s[16:17], v[76:77]
	v_fma_f64 v[44:45], v[44:45], s[16:17], -v[76:77]
	v_mul_f64_e32 v[76:77], s[34:35], v[72:73]
	v_add_f64_e32 v[96:97], v[96:97], v[174:175]
	v_add_f64_e32 v[100:101], v[100:101], v[108:109]
	;; [unrolled: 1-line block ×3, first 2 shown]
	v_fma_f64 v[108:109], v[98:99], s[12:13], v[164:165]
	v_add_f64_e32 v[102:103], v[102:103], v[124:125]
	v_fma_f64 v[164:165], v[98:99], s[12:13], -v[164:165]
	v_add_f64_e32 v[112:113], v[152:153], v[112:113]
	v_mul_f64_e32 v[140:141], s[28:29], v[84:85]
	v_mul_f64_e32 v[142:143], s[36:37], v[84:85]
	;; [unrolled: 1-line block ×5, first 2 shown]
	v_fma_f64 v[212:213], v[98:99], s[14:15], v[114:115]
	v_fma_f64 v[114:115], v[98:99], s[14:15], -v[114:115]
	v_fma_f64 v[152:153], v[98:99], s[18:19], v[168:169]
	v_fma_f64 v[168:169], v[98:99], s[18:19], -v[168:169]
	v_add_f64_e32 v[128:129], v[156:157], v[128:129]
	v_add_f64_e32 v[178:179], v[204:205], v[178:179]
	;; [unrolled: 1-line block ×5, first 2 shown]
	v_mul_f64_e32 v[124:125], s[22:23], v[64:65]
	v_add_f64_e32 v[94:95], v[94:95], v[208:209]
	v_mul_f64_e32 v[72:73], s[22:23], v[72:73]
	v_add_f64_e32 v[86:87], v[86:87], v[134:135]
	;; [unrolled: 2-line block ×3, first 2 shown]
	v_add_f64_e32 v[20:21], v[20:21], v[28:29]
	v_add_f64_e32 v[34:35], v[202:203], v[34:35]
	v_fma_f64 v[202:203], v[98:99], s[16:17], v[166:167]
	v_fma_f64 v[166:167], v[98:99], s[16:17], -v[166:167]
	v_fma_f64 v[28:29], v[98:99], s[10:11], v[170:171]
	v_fma_f64 v[30:31], v[98:99], s[10:11], -v[170:171]
	;; [unrolled: 2-line block ×3, first 2 shown]
	v_mul_f64_e32 v[98:99], s[22:23], v[60:61]
	v_add_f64_e32 v[32:33], v[32:33], v[188:189]
	v_add_f64_e32 v[130:131], v[158:159], v[130:131]
	;; [unrolled: 1-line block ×4, first 2 shown]
	v_fma_f64 v[96:97], v[70:71], s[16:17], -v[136:137]
	v_add_f64_e32 v[74:75], v[108:109], v[74:75]
	v_fma_f64 v[108:109], v[70:71], s[10:11], -v[138:139]
	v_fma_f64 v[138:139], v[70:71], s[10:11], v[138:139]
	v_add_f64_e32 v[102:103], v[164:165], v[102:103]
	v_add_f64_e32 v[112:113], v[146:147], v[112:113]
	v_fma_f64 v[146:147], v[68:69], s[10:11], v[76:77]
	v_add_f64_e32 v[78:79], v[78:79], v[192:193]
	v_fma_f64 v[136:137], v[70:71], s[16:17], v[136:137]
	v_add_f64_e32 v[38:39], v[38:39], v[100:101]
	v_add_f64_e32 v[26:27], v[46:47], v[26:27]
	;; [unrolled: 1-line block ×4, first 2 shown]
	v_mul_f64_e32 v[188:189], s[34:35], v[60:61]
	v_mul_f64_e32 v[154:155], s[26:27], v[64:65]
	;; [unrolled: 1-line block ×5, first 2 shown]
	v_fma_f64 v[100:101], v[70:71], s[20:21], -v[140:141]
	v_fma_f64 v[140:141], v[70:71], s[20:21], v[140:141]
	v_fma_f64 v[164:165], v[70:71], s[14:15], -v[118:119]
	v_fma_f64 v[118:119], v[70:71], s[14:15], v[118:119]
	v_fma_f64 v[76:77], v[68:69], s[10:11], -v[76:77]
	v_fma_f64 v[192:193], v[66:67], s[14:15], -v[104:105]
	v_add_f64_e32 v[18:19], v[18:19], v[22:23]
	v_add_f64_e32 v[16:17], v[16:17], v[20:21]
	;; [unrolled: 1-line block ×3, first 2 shown]
	v_fma_f64 v[144:145], v[68:69], s[16:17], v[172:173]
	v_add_f64_e32 v[186:187], v[202:203], v[186:187]
	v_fma_f64 v[172:173], v[68:69], s[16:17], -v[172:173]
	v_add_f64_e32 v[20:21], v[88:89], v[120:121]
	v_add_f64_e32 v[22:23], v[160:161], v[132:133]
	;; [unrolled: 1-line block ×3, first 2 shown]
	v_fma_f64 v[202:203], v[70:71], s[12:13], -v[142:143]
	v_fma_f64 v[92:93], v[68:69], s[20:21], v[174:175]
	v_fma_f64 v[120:121], v[68:69], s[20:21], -v[174:175]
	v_fma_f64 v[132:133], v[68:69], s[14:15], v[122:123]
	;; [unrolled: 2-line block ×3, first 2 shown]
	v_fma_f64 v[184:185], v[62:63], s[18:19], v[98:99]
	v_fma_f64 v[98:99], v[62:63], s[18:19], -v[98:99]
	v_fma_f64 v[126:127], v[62:63], s[14:15], v[106:107]
	v_fma_f64 v[104:105], v[66:67], s[14:15], v[104:105]
	v_add_f64_e32 v[44:45], v[166:167], v[128:129]
	v_add_f64_e32 v[46:47], v[194:195], v[178:179]
	;; [unrolled: 1-line block ×8, first 2 shown]
	v_fma_f64 v[130:131], v[70:71], s[18:19], -v[84:85]
	v_add_f64_e32 v[90:91], v[150:151], v[90:91]
	v_add_f64_e32 v[30:31], v[30:31], v[86:87]
	v_fma_f64 v[174:175], v[66:67], s[18:19], -v[124:125]
	v_fma_f64 v[124:125], v[66:67], s[18:19], v[124:125]
	v_add_f64_e32 v[38:39], v[136:137], v[38:39]
	v_add_f64_e32 v[86:87], v[200:201], v[94:95]
	v_mul_f64_e32 v[64:65], s[2:3], v[64:65]
	v_mul_f64_e32 v[60:61], s[2:3], v[60:61]
	v_fma_f64 v[136:137], v[68:69], s[18:19], v[72:73]
	v_add_f64_e32 v[26:27], v[80:81], v[26:27]
	v_add_f64_e32 v[14:15], v[14:15], v[18:19]
	v_add_f64_e32 v[12:13], v[12:13], v[16:17]
	v_add_f64_e32 v[34:35], v[108:109], v[34:35]
	v_add_f64_e32 v[108:109], v[138:139], v[112:113]
	v_fma_f64 v[112:113], v[70:71], s[12:13], v[142:143]
	v_add_f64_e32 v[96:97], v[172:173], v[102:103]
	v_add_f64_e32 v[102:103], v[146:147], v[186:187]
	;; [unrolled: 1-line block ×6, first 2 shown]
	v_fma_f64 v[70:71], v[70:71], s[18:19], v[84:85]
	v_fma_f64 v[84:85], v[68:69], s[12:13], -v[182:183]
	v_fma_f64 v[68:69], v[68:69], s[18:19], -v[72:73]
	v_add_f64_e32 v[24:25], v[82:83], v[24:25]
	v_add_f64_e32 v[94:95], v[170:171], v[134:135]
	v_mul_f64_e32 v[78:79], s[22:23], v[58:59]
	v_mul_f64_e32 v[28:29], s[24:25], v[56:57]
	v_mul_f64_e32 v[88:89], s[22:23], v[56:57]
	v_add_f64_e32 v[44:45], v[76:77], v[44:45]
	v_add_f64_e32 v[46:47], v[100:101], v[46:47]
	;; [unrolled: 1-line block ×7, first 2 shown]
	v_fma_f64 v[110:111], v[62:63], s[16:17], v[158:159]
	v_fma_f64 v[116:117], v[62:63], s[16:17], -v[158:159]
	v_fma_f64 v[120:121], v[62:63], s[20:21], v[190:191]
	v_fma_f64 v[114:115], v[66:67], s[16:17], v[154:155]
	v_fma_f64 v[106:107], v[62:63], s[14:15], -v[106:107]
	v_mul_f64_e32 v[156:157], s[24:25], v[58:59]
	v_add_f64_e32 v[38:39], v[124:125], v[38:39]
	v_mul_f64_e32 v[124:125], s[2:3], v[58:59]
	v_add_f64_e32 v[86:87], v[130:131], v[86:87]
	;; [unrolled: 2-line block ×3, first 2 shown]
	v_fma_f64 v[128:129], v[66:67], s[12:13], -v[64:65]
	v_add_f64_e32 v[10:11], v[10:11], v[14:15]
	v_add_f64_e32 v[8:9], v[8:9], v[12:13]
	v_fma_f64 v[64:65], v[66:67], s[12:13], v[64:65]
	v_add_f64_e32 v[100:101], v[104:105], v[108:109]
	v_fma_f64 v[104:105], v[62:63], s[10:11], -v[188:189]
	v_add_f64_e32 v[96:97], v[98:99], v[96:97]
	v_add_f64_e32 v[98:99], v[126:127], v[102:103]
	;; [unrolled: 1-line block ×6, first 2 shown]
	v_fma_f64 v[20:21], v[66:67], s[10:11], -v[204:205]
	v_fma_f64 v[22:23], v[62:63], s[10:11], v[188:189]
	v_fma_f64 v[102:103], v[66:67], s[10:11], v[204:205]
	v_fma_f64 v[108:109], v[66:67], s[16:17], -v[154:155]
	v_fma_f64 v[118:119], v[66:67], s[20:21], -v[206:207]
	v_mul_f64_e32 v[122:123], s[6:7], v[58:59]
	v_add_f64_e32 v[90:91], v[112:113], v[90:91]
	v_fma_f64 v[112:113], v[66:67], s[20:21], v[206:207]
	v_add_f64_e32 v[30:31], v[84:85], v[30:31]
	v_mul_f64_e32 v[84:85], s[6:7], v[56:57]
	v_fma_f64 v[126:127], v[62:63], s[20:21], -v[190:191]
	v_mul_f64_e32 v[58:59], s[0:1], v[58:59]
	v_add_f64_e32 v[26:27], v[70:71], v[26:27]
	v_fma_f64 v[70:71], v[62:63], s[12:13], -v[60:61]
	v_mul_f64_e32 v[56:57], s[0:1], v[56:57]
	v_add_f64_e32 v[24:25], v[68:69], v[24:25]
	v_add_f64_e32 v[94:95], v[136:137], v[94:95]
	v_fma_f64 v[60:61], v[62:63], s[12:13], v[60:61]
	v_add_f64_e32 v[34:35], v[192:193], v[34:35]
	v_fma_f64 v[68:69], v[50:51], s[18:19], -v[78:79]
	v_fma_f64 v[66:67], v[48:49], s[20:21], v[28:29]
	v_fma_f64 v[28:29], v[48:49], s[20:21], -v[28:29]
	v_fma_f64 v[62:63], v[48:49], s[18:19], v[88:89]
	v_add_f64_e32 v[44:45], v[106:107], v[44:45]
	v_fma_f64 v[78:79], v[50:51], s[18:19], v[78:79]
	v_fma_f64 v[88:89], v[48:49], s[18:19], -v[88:89]
	v_fma_f64 v[132:133], v[50:51], s[20:21], v[156:157]
	v_fma_f64 v[72:73], v[50:51], s[20:21], -v[156:157]
	v_add_f64_e32 v[36:37], v[174:175], v[36:37]
	v_add_f64_e32 v[74:75], v[184:185], v[74:75]
	v_add_f64_e32 v[86:87], v[128:129], v[86:87]
	v_add_f64_e32 v[106:107], v[6:7], v[10:11]
	v_add_f64_e32 v[134:135], v[4:5], v[8:9]
	v_mad_u32_u24 v53, 0xd0, v52, 0
	v_add_f64_e32 v[20:21], v[20:21], v[46:47]
	v_add_f64_e32 v[32:33], v[22:23], v[32:33]
	;; [unrolled: 1-line block ×9, first 2 shown]
	v_fma_f64 v[22:23], v[50:51], s[16:17], -v[122:123]
	v_fma_f64 v[110:111], v[50:51], s[16:17], v[122:123]
	v_add_f64_e32 v[90:91], v[112:113], v[90:91]
	v_fma_f64 v[116:117], v[48:49], s[16:17], v[84:85]
	v_add_f64_e32 v[118:119], v[126:127], v[30:31]
	v_fma_f64 v[120:121], v[50:51], s[14:15], -v[42:43]
	v_fma_f64 v[42:43], v[50:51], s[14:15], v[42:43]
	v_fma_f64 v[122:123], v[48:49], s[14:15], -v[40:41]
	v_add_f64_e32 v[92:93], v[114:115], v[12:13]
	v_fma_f64 v[112:113], v[50:51], s[12:13], -v[124:125]
	v_fma_f64 v[114:115], v[50:51], s[12:13], v[124:125]
	v_fma_f64 v[124:125], v[48:49], s[12:13], -v[130:131]
	v_fma_f64 v[84:85], v[48:49], s[16:17], -v[84:85]
	v_fma_f64 v[126:127], v[48:49], s[12:13], v[130:131]
	v_fma_f64 v[40:41], v[48:49], s[14:15], v[40:41]
	v_fma_f64 v[128:129], v[50:51], s[10:11], -v[58:59]
	v_fma_f64 v[50:51], v[50:51], s[10:11], v[58:59]
	v_add_f64_e32 v[58:59], v[64:65], v[26:27]
	v_fma_f64 v[64:65], v[48:49], s[10:11], -v[56:57]
	v_add_f64_e32 v[70:71], v[70:71], v[24:25]
	v_fma_f64 v[56:57], v[48:49], s[10:11], v[56:57]
	v_add_f64_e32 v[60:61], v[60:61], v[94:95]
	v_add_f64_e32 v[14:15], v[68:69], v[34:35]
	;; [unrolled: 1-line block ×27, first 2 shown]
	ds_store_b128 v53, v[32:35] offset:32
	ds_store_b128 v53, v[28:31] offset:48
	;; [unrolled: 1-line block ×11, first 2 shown]
	ds_store_b128 v53, v[0:3]
	ds_store_b128 v53, v[44:47] offset:192
.LBB0_13:
	s_or_b32 exec_lo, exec_lo, s33
	s_wait_loadcnt 0x0
	v_and_b32_e32 v0, 0xff, v52
	v_add_nc_u16 v1, v52, 52
	v_add_nc_u16 v3, v52, 0x68
	global_wb scope:SCOPE_SE
	s_wait_dscnt 0x0
	s_barrier_signal -1
	v_mul_lo_u16 v0, 0x4f, v0
	v_and_b32_e32 v2, 0xff, v1
	s_barrier_wait -1
	global_inv scope:SCOPE_SE
	s_mov_b32 s0, 0xe8584caa
	v_lshrrev_b16 v51, 10, v0
	v_mul_lo_u16 v0, 0x4f, v2
	v_and_b32_e32 v2, 0xff, v3
	s_mov_b32 s1, 0x3febb67a
	s_mov_b32 s3, 0xbfebb67a
	v_mul_lo_u16 v4, v51, 13
	v_lshrrev_b16 v53, 10, v0
	v_mul_lo_u16 v0, 0x4f, v2
	s_wait_alu 0xfffe
	s_mov_b32 s2, s0
	v_sub_nc_u16 v2, v52, v4
	v_mul_lo_u16 v4, v53, 13
	v_lshrrev_b16 v100, 10, v0
	s_delay_alu instid0(VALU_DEP_3) | instskip(NEXT) | instid1(VALU_DEP_3)
	v_and_b32_e32 v101, 0xff, v2
	v_sub_nc_u16 v0, v1, v4
	s_delay_alu instid0(VALU_DEP_3) | instskip(NEXT) | instid1(VALU_DEP_3)
	v_mul_lo_u16 v1, v100, 13
	v_mul_u32_u24_e32 v2, 3, v101
	s_delay_alu instid0(VALU_DEP_3) | instskip(NEXT) | instid1(VALU_DEP_3)
	v_and_b32_e32 v102, 0xff, v0
	v_sub_nc_u16 v0, v3, v1
	s_delay_alu instid0(VALU_DEP_3) | instskip(NEXT) | instid1(VALU_DEP_3)
	v_lshlrev_b32_e32 v9, 4, v2
	v_mul_u32_u24_e32 v10, 3, v102
	s_delay_alu instid0(VALU_DEP_3)
	v_and_b32_e32 v103, 0xff, v0
	s_clause 0x1
	global_load_b128 v[1:4], v9, s[4:5] offset:16
	global_load_b128 v[5:8], v9, s[4:5]
	v_lshlrev_b32_e32 v0, 4, v10
	v_mul_u32_u24_e32 v17, 3, v103
	s_clause 0x1
	global_load_b128 v[9:12], v9, s[4:5] offset:32
	global_load_b128 v[13:16], v0, s[4:5]
	v_lshlrev_b32_e32 v33, 4, v17
	s_clause 0x4
	global_load_b128 v[17:20], v0, s[4:5] offset:16
	global_load_b128 v[21:24], v0, s[4:5] offset:32
	global_load_b128 v[25:28], v33, s[4:5]
	global_load_b128 v[29:32], v33, s[4:5] offset:16
	global_load_b128 v[33:36], v33, s[4:5] offset:32
	v_lshl_add_u32 v0, v52, 4, 0
	ds_load_b128 v[37:40], v0 offset:2496
	ds_load_b128 v[41:44], v0 offset:4992
	;; [unrolled: 1-line block ×10, first 2 shown]
	s_wait_loadcnt_dscnt 0x808
	v_mul_f64_e32 v[84:85], v[43:44], v[3:4]
	s_wait_loadcnt 0x7
	v_mul_f64_e32 v[49:50], v[39:40], v[7:8]
	v_mul_f64_e32 v[7:8], v[37:38], v[7:8]
	;; [unrolled: 1-line block ×3, first 2 shown]
	s_wait_loadcnt_dscnt 0x607
	v_mul_f64_e32 v[86:87], v[47:48], v[11:12]
	v_mul_f64_e32 v[11:12], v[45:46], v[11:12]
	s_wait_loadcnt_dscnt 0x506
	v_mul_f64_e32 v[88:89], v[58:59], v[15:16]
	v_mul_f64_e32 v[15:16], v[56:57], v[15:16]
	;; [unrolled: 3-line block ×7, first 2 shown]
	v_fma_f64 v[41:42], v[41:42], v[1:2], -v[84:85]
	v_fma_f64 v[37:38], v[37:38], v[5:6], -v[49:50]
	v_fma_f64 v[39:40], v[39:40], v[5:6], v[7:8]
	v_fma_f64 v[43:44], v[43:44], v[1:2], v[3:4]
	ds_load_b128 v[1:4], v0
	ds_load_b128 v[5:8], v0 offset:832
	v_fma_f64 v[45:46], v[45:46], v[9:10], -v[86:87]
	v_fma_f64 v[9:10], v[47:48], v[9:10], v[11:12]
	v_fma_f64 v[11:12], v[56:57], v[13:14], -v[88:89]
	v_fma_f64 v[13:14], v[58:59], v[13:14], v[15:16]
	;; [unrolled: 2-line block ×7, first 2 shown]
	global_wb scope:SCOPE_SE
	s_wait_dscnt 0x0
	s_barrier_signal -1
	s_barrier_wait -1
	global_inv scope:SCOPE_SE
	v_add_f64_e64 v[35:36], v[1:2], -v[41:42]
	v_add_f64_e64 v[41:42], v[3:4], -v[43:44]
	;; [unrolled: 1-line block ×12, first 2 shown]
	v_fma_f64 v[31:32], v[1:2], 2.0, -v[35:36]
	v_fma_f64 v[58:59], v[3:4], 2.0, -v[41:42]
	v_fma_f64 v[21:22], v[37:38], 2.0, -v[43:44]
	v_fma_f64 v[29:30], v[39:40], 2.0, -v[9:10]
	v_add_f64_e64 v[1:2], v[35:36], -v[9:10]
	v_add_f64_e32 v[3:4], v[41:42], v[43:44]
	v_fma_f64 v[39:40], v[5:6], 2.0, -v[45:46]
	v_fma_f64 v[60:61], v[7:8], 2.0, -v[47:48]
	v_fma_f64 v[33:34], v[11:12], 2.0, -v[15:16]
	v_fma_f64 v[37:38], v[13:14], 2.0, -v[17:18]
	v_add_f64_e64 v[5:6], v[45:46], -v[17:18]
	v_add_f64_e32 v[7:8], v[47:48], v[15:16]
	;; [unrolled: 6-line block ×3, first 2 shown]
	v_add_f64_e64 v[9:10], v[31:32], -v[21:22]
	v_add_f64_e64 v[11:12], v[58:59], -v[29:30]
	v_fma_f64 v[27:28], v[41:42], 2.0, -v[3:4]
	v_add_f64_e64 v[17:18], v[39:40], -v[33:34]
	v_add_f64_e64 v[19:20], v[60:61], -v[37:38]
	v_fma_f64 v[29:30], v[45:46], 2.0, -v[5:6]
	v_add_f64_e64 v[21:22], v[62:63], -v[23:24]
	v_add_f64_e64 v[23:24], v[64:65], -v[25:26]
	v_fma_f64 v[25:26], v[35:36], 2.0, -v[1:2]
	v_fma_f64 v[37:38], v[49:50], 2.0, -v[13:14]
	v_and_b32_e32 v49, 0xffff, v51
	v_and_b32_e32 v50, 0xffff, v53
	;; [unrolled: 1-line block ×3, first 2 shown]
	v_mul_u32_u24_e32 v53, 5, v52
	s_delay_alu instid0(VALU_DEP_4) | instskip(NEXT) | instid1(VALU_DEP_4)
	v_mul_u32_u24_e32 v49, 0x340, v49
	v_mul_u32_u24_e32 v50, 0x340, v50
	s_delay_alu instid0(VALU_DEP_4) | instskip(NEXT) | instid1(VALU_DEP_4)
	v_mul_u32_u24_e32 v51, 0x340, v51
	v_lshlrev_b32_e32 v53, 4, v53
	v_fma_f64 v[33:34], v[31:32], 2.0, -v[9:10]
	v_fma_f64 v[35:36], v[58:59], 2.0, -v[11:12]
	;; [unrolled: 1-line block ×3, first 2 shown]
	v_lshlrev_b32_e32 v58, 4, v103
	v_fma_f64 v[41:42], v[39:40], 2.0, -v[17:18]
	v_fma_f64 v[43:44], v[60:61], 2.0, -v[19:20]
	;; [unrolled: 1-line block ×3, first 2 shown]
	v_lshlrev_b32_e32 v56, 4, v101
	v_lshlrev_b32_e32 v57, 4, v102
	v_add3_u32 v51, 0, v51, v58
	v_fma_f64 v[45:46], v[62:63], 2.0, -v[21:22]
	v_fma_f64 v[47:48], v[64:65], 2.0, -v[23:24]
	v_add3_u32 v49, 0, v49, v56
	v_add3_u32 v50, 0, v50, v57
	ds_store_b128 v49, v[9:12] offset:416
	ds_store_b128 v49, v[1:4] offset:624
	ds_store_b128 v49, v[33:36]
	ds_store_b128 v49, v[25:28] offset:208
	ds_store_b128 v50, v[17:20] offset:416
	;; [unrolled: 1-line block ×3, first 2 shown]
	ds_store_b128 v50, v[41:44]
	ds_store_b128 v50, v[29:32] offset:208
	ds_store_b128 v51, v[45:48]
	ds_store_b128 v51, v[37:40] offset:208
	ds_store_b128 v51, v[21:24] offset:416
	;; [unrolled: 1-line block ×3, first 2 shown]
	global_wb scope:SCOPE_SE
	s_wait_dscnt 0x0
	s_barrier_signal -1
	s_barrier_wait -1
	global_inv scope:SCOPE_SE
	s_clause 0x4
	global_load_b128 v[1:4], v53, s[4:5] offset:656
	global_load_b128 v[5:8], v53, s[4:5] offset:688
	;; [unrolled: 1-line block ×5, first 2 shown]
	ds_load_b128 v[21:24], v0 offset:4992
	ds_load_b128 v[25:28], v0 offset:8320
	;; [unrolled: 1-line block ×6, first 2 shown]
	s_wait_loadcnt_dscnt 0x405
	v_mul_f64_e32 v[45:46], v[23:24], v[3:4]
	v_mul_f64_e32 v[47:48], v[21:22], v[3:4]
	s_wait_loadcnt_dscnt 0x304
	v_mul_f64_e32 v[49:50], v[25:26], v[7:8]
	v_mul_f64_e32 v[56:57], v[27:28], v[7:8]
	s_wait_dscnt 0x3
	v_mul_f64_e32 v[58:59], v[31:32], v[3:4]
	v_mul_f64_e32 v[3:4], v[29:30], v[3:4]
	s_wait_dscnt 0x2
	v_mul_f64_e32 v[60:61], v[33:34], v[7:8]
	v_mul_f64_e32 v[7:8], v[35:36], v[7:8]
	s_wait_loadcnt_dscnt 0x201
	v_mul_f64_e32 v[62:63], v[39:40], v[11:12]
	v_mul_f64_e32 v[64:65], v[37:38], v[11:12]
	s_wait_dscnt 0x0
	v_mul_f64_e32 v[66:67], v[43:44], v[11:12]
	v_mul_f64_e32 v[11:12], v[41:42], v[11:12]
	v_fma_f64 v[45:46], v[21:22], v[1:2], -v[45:46]
	v_fma_f64 v[47:48], v[23:24], v[1:2], v[47:48]
	v_fma_f64 v[49:50], v[27:28], v[5:6], v[49:50]
	v_fma_f64 v[56:57], v[25:26], v[5:6], -v[56:57]
	v_fma_f64 v[29:30], v[29:30], v[1:2], -v[58:59]
	v_fma_f64 v[31:32], v[31:32], v[1:2], v[3:4]
	v_fma_f64 v[35:36], v[35:36], v[5:6], v[60:61]
	v_fma_f64 v[33:34], v[33:34], v[5:6], -v[7:8]
	ds_load_b128 v[1:4], v0 offset:3328
	ds_load_b128 v[5:8], v0 offset:6656
	;; [unrolled: 1-line block ×4, first 2 shown]
	v_fma_f64 v[37:38], v[37:38], v[9:10], -v[62:63]
	v_fma_f64 v[39:40], v[39:40], v[9:10], v[64:65]
	v_fma_f64 v[41:42], v[41:42], v[9:10], -v[66:67]
	v_fma_f64 v[9:10], v[43:44], v[9:10], v[11:12]
	s_wait_loadcnt_dscnt 0x103
	v_mul_f64_e32 v[58:59], v[3:4], v[15:16]
	v_mul_f64_e32 v[60:61], v[1:2], v[15:16]
	s_wait_loadcnt_dscnt 0x2
	v_mul_f64_e32 v[68:69], v[7:8], v[19:20]
	v_mul_f64_e32 v[70:71], v[5:6], v[19:20]
	s_wait_dscnt 0x1
	v_mul_f64_e32 v[72:73], v[23:24], v[15:16]
	v_mul_f64_e32 v[15:16], v[21:22], v[15:16]
	s_wait_dscnt 0x0
	v_mul_f64_e32 v[74:75], v[27:28], v[19:20]
	v_mul_f64_e32 v[19:20], v[25:26], v[19:20]
	v_add_f64_e32 v[62:63], v[47:48], v[49:50]
	v_add_f64_e32 v[64:65], v[45:46], v[56:57]
	;; [unrolled: 1-line block ×4, first 2 shown]
	v_fma_f64 v[58:59], v[1:2], v[13:14], -v[58:59]
	v_fma_f64 v[60:61], v[3:4], v[13:14], v[60:61]
	v_fma_f64 v[66:67], v[5:6], v[17:18], -v[68:69]
	v_fma_f64 v[68:69], v[7:8], v[17:18], v[70:71]
	v_add_f64_e64 v[1:2], v[47:48], -v[49:50]
	v_add_f64_e64 v[3:4], v[45:46], -v[56:57]
	v_fma_f64 v[21:22], v[21:22], v[13:14], -v[72:73]
	v_fma_f64 v[13:14], v[23:24], v[13:14], v[15:16]
	v_fma_f64 v[15:16], v[25:26], v[17:18], -v[74:75]
	v_fma_f64 v[17:18], v[27:28], v[17:18], v[19:20]
	v_add_f64_e64 v[19:20], v[31:32], -v[35:36]
	v_add_f64_e64 v[23:24], v[29:30], -v[33:34]
	v_add_f64_e32 v[29:30], v[41:42], v[29:30]
	v_fma_f64 v[5:6], v[62:63], -0.5, v[39:40]
	v_fma_f64 v[7:8], v[64:65], -0.5, v[37:38]
	v_add_f64_e32 v[37:38], v[37:38], v[45:46]
	v_add_f64_e32 v[39:40], v[39:40], v[47:48]
	v_fma_f64 v[11:12], v[11:12], -0.5, v[9:10]
	v_fma_f64 v[25:26], v[43:44], -0.5, v[41:42]
	v_add_f64_e32 v[9:10], v[9:10], v[31:32]
	v_add_f64_e32 v[27:28], v[58:59], v[66:67]
	;; [unrolled: 1-line block ×6, first 2 shown]
	s_wait_alu 0xfffe
	v_fma_f64 v[62:63], v[3:4], s[2:3], v[5:6]
	v_fma_f64 v[70:71], v[1:2], s[0:1], v[7:8]
	;; [unrolled: 1-line block ×8, first 2 shown]
	ds_load_b128 v[1:4], v0
	ds_load_b128 v[5:8], v0 offset:832
	v_add_f64_e64 v[25:26], v[60:61], -v[68:69]
	v_add_f64_e32 v[37:38], v[37:38], v[56:57]
	v_add_f64_e32 v[39:40], v[39:40], v[49:50]
	;; [unrolled: 1-line block ×3, first 2 shown]
	global_wb scope:SCOPE_SE
	s_wait_dscnt 0x0
	s_barrier_signal -1
	s_barrier_wait -1
	global_inv scope:SCOPE_SE
	v_add_f64_e32 v[23:24], v[1:2], v[58:59]
	v_add_f64_e32 v[60:61], v[3:4], v[60:61]
	v_add_f64_e32 v[45:46], v[5:6], v[21:22]
	v_add_f64_e32 v[47:48], v[7:8], v[13:14]
	v_fma_f64 v[1:2], v[27:28], -0.5, v[1:2]
	v_add_f64_e64 v[27:28], v[58:59], -v[66:67]
	v_fma_f64 v[3:4], v[43:44], -0.5, v[3:4]
	v_add_f64_e64 v[13:14], v[13:14], -v[17:18]
	;; [unrolled: 2-line block ×3, first 2 shown]
	v_mul_f64_e32 v[31:32], s[0:1], v[62:63]
	v_mul_f64_e32 v[43:44], s[2:3], v[70:71]
	v_mul_f64_e32 v[41:42], -0.5, v[64:65]
	v_mul_f64_e32 v[58:59], -0.5, v[72:73]
	v_fma_f64 v[7:8], v[76:77], -0.5, v[7:8]
	v_mul_f64_e32 v[74:75], s[0:1], v[78:79]
	v_mul_f64_e32 v[82:83], s[2:3], v[19:20]
	v_mul_f64_e32 v[76:77], -0.5, v[80:81]
	v_mul_f64_e32 v[84:85], -0.5, v[11:12]
	v_add_f64_e32 v[23:24], v[23:24], v[66:67]
	v_add_f64_e32 v[60:61], v[60:61], v[68:69]
	;; [unrolled: 1-line block ×4, first 2 shown]
	v_fma_f64 v[35:36], v[25:26], s[0:1], v[1:2]
	v_fma_f64 v[45:46], v[25:26], s[2:3], v[1:2]
	;; [unrolled: 1-line block ×5, first 2 shown]
	v_fma_f64 v[25:26], v[70:71], 0.5, v[31:32]
	v_fma_f64 v[31:32], v[62:63], 0.5, v[43:44]
	v_fma_f64 v[27:28], v[72:73], s[0:1], v[41:42]
	v_fma_f64 v[41:42], v[64:65], s[2:3], v[58:59]
	;; [unrolled: 1-line block ×4, first 2 shown]
	v_fma_f64 v[64:65], v[19:20], 0.5, v[74:75]
	v_fma_f64 v[68:69], v[78:79], 0.5, v[82:83]
	v_fma_f64 v[62:63], v[21:22], s[0:1], v[7:8]
	v_fma_f64 v[66:67], v[11:12], s[0:1], v[76:77]
	;; [unrolled: 1-line block ×3, first 2 shown]
	v_add_f64_e32 v[1:2], v[23:24], v[37:38]
	v_add_f64_e32 v[3:4], v[60:61], v[39:40]
	v_add_f64_e32 v[9:10], v[15:16], v[29:30]
	v_add_f64_e32 v[11:12], v[17:18], v[33:34]
	v_add_f64_e64 v[13:14], v[15:16], -v[29:30]
	v_add_f64_e64 v[15:16], v[17:18], -v[33:34]
	v_add_f64_e64 v[5:6], v[23:24], -v[37:38]
	v_add_f64_e64 v[7:8], v[60:61], -v[39:40]
	v_add_f64_e32 v[17:18], v[35:36], v[25:26]
	v_add_f64_e32 v[19:20], v[47:48], v[31:32]
	v_add_f64_e32 v[21:22], v[45:46], v[27:28]
	v_add_f64_e32 v[23:24], v[49:50], v[41:42]
	v_add_f64_e64 v[25:26], v[35:36], -v[25:26]
	v_add_f64_e64 v[29:30], v[45:46], -v[27:28]
	v_add_f64_e64 v[27:28], v[47:48], -v[31:32]
	v_add_f64_e64 v[31:32], v[49:50], -v[41:42]
	;; [unrolled: 8-line block ×3, first 2 shown]
	ds_store_b128 v0, v[1:4]
	ds_store_b128 v0, v[17:20] offset:832
	ds_store_b128 v0, v[21:24] offset:1664
	ds_store_b128 v0, v[5:8] offset:2496
	ds_store_b128 v0, v[25:28] offset:3328
	ds_store_b128 v0, v[29:32] offset:4160
	ds_store_b128 v0, v[9:12] offset:4992
	ds_store_b128 v0, v[33:36] offset:5824
	ds_store_b128 v0, v[37:40] offset:6656
	ds_store_b128 v0, v[13:16] offset:7488
	ds_store_b128 v0, v[41:44] offset:8320
	ds_store_b128 v0, v[45:48] offset:9152
	global_wb scope:SCOPE_SE
	s_wait_dscnt 0x0
	s_barrier_signal -1
	s_barrier_wait -1
	global_inv scope:SCOPE_SE
	s_and_saveexec_b32 s0, vcc_lo
	s_cbranch_execz .LBB0_15
; %bb.14:
	v_mov_b32_e32 v53, 0
	v_add_nc_u32_e32 v51, 0x104, v52
	s_delay_alu instid0(VALU_DEP_2) | instskip(NEXT) | instid1(VALU_DEP_2)
	v_lshlrev_b64_e32 v[49:50], 4, v[52:53]
	v_lshrrev_b32_e32 v51, 3, v51
	s_delay_alu instid0(VALU_DEP_1) | instskip(NEXT) | instid1(VALU_DEP_3)
	v_mul_hi_u32 v51, 0x1a41a41b, v51
	v_add_co_u32 v21, vcc_lo, s4, v49
	s_wait_alu 0xfffd
	s_delay_alu instid0(VALU_DEP_4)
	v_add_co_ci_u32_e32 v22, vcc_lo, s5, v50, vcc_lo
	s_clause 0x5
	global_load_b128 v[1:4], v[21:22], off offset:8112
	global_load_b128 v[5:8], v[21:22], off offset:7280
	;; [unrolled: 1-line block ×6, first 2 shown]
	ds_load_b128 v[25:28], v0 offset:8320
	ds_load_b128 v[29:32], v0 offset:7488
	;; [unrolled: 1-line block ×6, first 2 shown]
	v_lshrrev_b32_e32 v51, 2, v51
	s_wait_loadcnt_dscnt 0x505
	v_mul_f64_e32 v[56:57], v[1:2], v[27:28]
	s_wait_loadcnt_dscnt 0x404
	v_mul_f64_e32 v[58:59], v[5:6], v[31:32]
	;; [unrolled: 2-line block ×5, first 2 shown]
	v_mul_f64_e32 v[43:44], v[19:20], v[43:44]
	v_mul_f64_e32 v[39:40], v[15:16], v[39:40]
	;; [unrolled: 1-line block ×5, first 2 shown]
	s_wait_loadcnt_dscnt 0x0
	v_mul_f64_e32 v[66:67], v[21:22], v[47:48]
	v_mul_f64_e32 v[47:48], v[23:24], v[47:48]
	v_fma_f64 v[56:57], v[3:4], v[25:26], v[56:57]
	v_fma_f64 v[58:59], v[7:8], v[29:30], v[58:59]
	;; [unrolled: 1-line block ×5, first 2 shown]
	v_fma_f64 v[41:42], v[41:42], v[17:18], -v[43:44]
	v_fma_f64 v[37:38], v[37:38], v[13:14], -v[39:40]
	;; [unrolled: 1-line block ×5, first 2 shown]
	v_fma_f64 v[66:67], v[23:24], v[45:46], v[66:67]
	v_fma_f64 v[45:46], v[45:46], v[21:22], -v[47:48]
	ds_load_b128 v[1:4], v0 offset:3328
	ds_load_b128 v[5:8], v0 offset:2496
	;; [unrolled: 1-line block ×4, first 2 shown]
	ds_load_b128 v[17:20], v0
	ds_load_b128 v[21:24], v0 offset:4160
	v_add_nc_u32_e32 v0, 0xd0, v52
	v_mul_u32_u24_e32 v52, 0x138, v51
	s_delay_alu instid0(VALU_DEP_2) | instskip(NEXT) | instid1(VALU_DEP_2)
	v_lshrrev_b32_e32 v0, 3, v0
	v_lshlrev_b64_e32 v[51:52], 4, v[52:53]
	s_delay_alu instid0(VALU_DEP_2) | instskip(NEXT) | instid1(VALU_DEP_1)
	v_mul_hi_u32 v0, 0x1a41a41b, v0
	v_lshrrev_b32_e32 v0, 2, v0
	s_wait_dscnt 0x5
	v_add_f64_e64 v[27:28], v[3:4], -v[56:57]
	s_wait_dscnt 0x4
	v_add_f64_e64 v[31:32], v[7:8], -v[58:59]
	;; [unrolled: 2-line block ×5, first 2 shown]
	v_add_f64_e64 v[41:42], v[17:18], -v[41:42]
	v_add_f64_e64 v[37:38], v[13:14], -v[37:38]
	;; [unrolled: 1-line block ×5, first 2 shown]
	s_wait_dscnt 0x0
	v_add_f64_e64 v[47:48], v[23:24], -v[66:67]
	v_add_f64_e64 v[45:46], v[21:22], -v[45:46]
	v_mov_b32_e32 v57, v53
	v_mul_u32_u24_e32 v56, 0x138, v0
	v_add_co_u32 v0, vcc_lo, s8, v54
	s_wait_alu 0xfffd
	v_add_co_ci_u32_e32 v58, vcc_lo, s9, v55, vcc_lo
	s_delay_alu instid0(VALU_DEP_3) | instskip(NEXT) | instid1(VALU_DEP_3)
	v_lshlrev_b64_e32 v[54:55], 4, v[56:57]
	v_add_co_u32 v49, vcc_lo, v0, v49
	s_wait_alu 0xfffd
	s_delay_alu instid0(VALU_DEP_3) | instskip(NEXT) | instid1(VALU_DEP_2)
	v_add_co_ci_u32_e32 v50, vcc_lo, v58, v50, vcc_lo
	v_add_co_u32 v53, vcc_lo, v49, v54
	s_wait_alu 0xfffd
	s_delay_alu instid0(VALU_DEP_2)
	v_add_co_ci_u32_e32 v54, vcc_lo, v50, v55, vcc_lo
	v_add_co_u32 v51, vcc_lo, v49, v51
	s_wait_alu 0xfffd
	v_add_co_ci_u32_e32 v52, vcc_lo, v50, v52, vcc_lo
	v_fma_f64 v[3:4], v[3:4], 2.0, -v[27:28]
	v_fma_f64 v[7:8], v[7:8], 2.0, -v[31:32]
	;; [unrolled: 1-line block ×12, first 2 shown]
	s_clause 0xb
	global_store_b128 v[49:50], v[41:44], off offset:4992
	global_store_b128 v[49:50], v[37:40], off offset:5824
	;; [unrolled: 1-line block ×4, first 2 shown]
	global_store_b128 v[49:50], v[17:20], off
	global_store_b128 v[49:50], v[13:16], off offset:832
	global_store_b128 v[49:50], v[9:12], off offset:1664
	;; [unrolled: 1-line block ×7, first 2 shown]
.LBB0_15:
	s_nop 0
	s_sendmsg sendmsg(MSG_DEALLOC_VGPRS)
	s_endpgm
	.section	.rodata,"a",@progbits
	.p2align	6, 0x0
	.amdhsa_kernel fft_rtc_fwd_len624_factors_13_4_6_2_wgs_52_tpt_52_dp_ip_CI_unitstride_sbrr_dirReg
		.amdhsa_group_segment_fixed_size 0
		.amdhsa_private_segment_fixed_size 0
		.amdhsa_kernarg_size 88
		.amdhsa_user_sgpr_count 2
		.amdhsa_user_sgpr_dispatch_ptr 0
		.amdhsa_user_sgpr_queue_ptr 0
		.amdhsa_user_sgpr_kernarg_segment_ptr 1
		.amdhsa_user_sgpr_dispatch_id 0
		.amdhsa_user_sgpr_private_segment_size 0
		.amdhsa_wavefront_size32 1
		.amdhsa_uses_dynamic_stack 0
		.amdhsa_enable_private_segment 0
		.amdhsa_system_sgpr_workgroup_id_x 1
		.amdhsa_system_sgpr_workgroup_id_y 0
		.amdhsa_system_sgpr_workgroup_id_z 0
		.amdhsa_system_sgpr_workgroup_info 0
		.amdhsa_system_vgpr_workitem_id 0
		.amdhsa_next_free_vgpr 214
		.amdhsa_next_free_sgpr 40
		.amdhsa_reserve_vcc 1
		.amdhsa_float_round_mode_32 0
		.amdhsa_float_round_mode_16_64 0
		.amdhsa_float_denorm_mode_32 3
		.amdhsa_float_denorm_mode_16_64 3
		.amdhsa_fp16_overflow 0
		.amdhsa_workgroup_processor_mode 1
		.amdhsa_memory_ordered 1
		.amdhsa_forward_progress 0
		.amdhsa_round_robin_scheduling 0
		.amdhsa_exception_fp_ieee_invalid_op 0
		.amdhsa_exception_fp_denorm_src 0
		.amdhsa_exception_fp_ieee_div_zero 0
		.amdhsa_exception_fp_ieee_overflow 0
		.amdhsa_exception_fp_ieee_underflow 0
		.amdhsa_exception_fp_ieee_inexact 0
		.amdhsa_exception_int_div_zero 0
	.end_amdhsa_kernel
	.text
.Lfunc_end0:
	.size	fft_rtc_fwd_len624_factors_13_4_6_2_wgs_52_tpt_52_dp_ip_CI_unitstride_sbrr_dirReg, .Lfunc_end0-fft_rtc_fwd_len624_factors_13_4_6_2_wgs_52_tpt_52_dp_ip_CI_unitstride_sbrr_dirReg
                                        ; -- End function
	.section	.AMDGPU.csdata,"",@progbits
; Kernel info:
; codeLenInByte = 7724
; NumSgprs: 42
; NumVgprs: 214
; ScratchSize: 0
; MemoryBound: 1
; FloatMode: 240
; IeeeMode: 1
; LDSByteSize: 0 bytes/workgroup (compile time only)
; SGPRBlocks: 5
; VGPRBlocks: 26
; NumSGPRsForWavesPerEU: 42
; NumVGPRsForWavesPerEU: 214
; Occupancy: 7
; WaveLimiterHint : 1
; COMPUTE_PGM_RSRC2:SCRATCH_EN: 0
; COMPUTE_PGM_RSRC2:USER_SGPR: 2
; COMPUTE_PGM_RSRC2:TRAP_HANDLER: 0
; COMPUTE_PGM_RSRC2:TGID_X_EN: 1
; COMPUTE_PGM_RSRC2:TGID_Y_EN: 0
; COMPUTE_PGM_RSRC2:TGID_Z_EN: 0
; COMPUTE_PGM_RSRC2:TIDIG_COMP_CNT: 0
	.text
	.p2alignl 7, 3214868480
	.fill 96, 4, 3214868480
	.type	__hip_cuid_363b9013e245835f,@object ; @__hip_cuid_363b9013e245835f
	.section	.bss,"aw",@nobits
	.globl	__hip_cuid_363b9013e245835f
__hip_cuid_363b9013e245835f:
	.byte	0                               ; 0x0
	.size	__hip_cuid_363b9013e245835f, 1

	.ident	"AMD clang version 19.0.0git (https://github.com/RadeonOpenCompute/llvm-project roc-6.4.0 25133 c7fe45cf4b819c5991fe208aaa96edf142730f1d)"
	.section	".note.GNU-stack","",@progbits
	.addrsig
	.addrsig_sym __hip_cuid_363b9013e245835f
	.amdgpu_metadata
---
amdhsa.kernels:
  - .args:
      - .actual_access:  read_only
        .address_space:  global
        .offset:         0
        .size:           8
        .value_kind:     global_buffer
      - .offset:         8
        .size:           8
        .value_kind:     by_value
      - .actual_access:  read_only
        .address_space:  global
        .offset:         16
        .size:           8
        .value_kind:     global_buffer
      - .actual_access:  read_only
        .address_space:  global
        .offset:         24
        .size:           8
        .value_kind:     global_buffer
      - .offset:         32
        .size:           8
        .value_kind:     by_value
      - .actual_access:  read_only
        .address_space:  global
        .offset:         40
        .size:           8
        .value_kind:     global_buffer
      - .actual_access:  read_only
        .address_space:  global
        .offset:         48
        .size:           8
        .value_kind:     global_buffer
      - .offset:         56
        .size:           4
        .value_kind:     by_value
      - .actual_access:  read_only
        .address_space:  global
        .offset:         64
        .size:           8
        .value_kind:     global_buffer
      - .actual_access:  read_only
        .address_space:  global
        .offset:         72
        .size:           8
        .value_kind:     global_buffer
      - .address_space:  global
        .offset:         80
        .size:           8
        .value_kind:     global_buffer
    .group_segment_fixed_size: 0
    .kernarg_segment_align: 8
    .kernarg_segment_size: 88
    .language:       OpenCL C
    .language_version:
      - 2
      - 0
    .max_flat_workgroup_size: 52
    .name:           fft_rtc_fwd_len624_factors_13_4_6_2_wgs_52_tpt_52_dp_ip_CI_unitstride_sbrr_dirReg
    .private_segment_fixed_size: 0
    .sgpr_count:     42
    .sgpr_spill_count: 0
    .symbol:         fft_rtc_fwd_len624_factors_13_4_6_2_wgs_52_tpt_52_dp_ip_CI_unitstride_sbrr_dirReg.kd
    .uniform_work_group_size: 1
    .uses_dynamic_stack: false
    .vgpr_count:     214
    .vgpr_spill_count: 0
    .wavefront_size: 32
    .workgroup_processor_mode: 1
amdhsa.target:   amdgcn-amd-amdhsa--gfx1201
amdhsa.version:
  - 1
  - 2
...

	.end_amdgpu_metadata
